;; amdgpu-corpus repo=llvm/llvm-project kind=harvested arch=n/a opt=n/a
// NOTE: Assertions have been autogenerated by utils/update_mc_test_checks.py UTC_ARGS: --version 6
// RUN: llvm-mc -triple=amdgcn -mcpu=gfx1310 -show-encoding %s | FileCheck -check-prefixes=GFX13 %s
// RUN: llvm-mc -triple=amdgcn -mcpu=gfx1310 -show-encoding %s | %extract-encodings | llvm-mc -triple=amdgcn -mcpu=gfx1310 -disassemble -show-encoding | FileCheck -check-prefixes=GFX13 %s

s_nop 0
// GFX13: s_nop 0                                 ; encoding: [0x00,0x00,0x80,0xbf]

s_nop 0x1234
// GFX13: s_nop 0x1234                            ; encoding: [0x34,0x12,0x80,0xbf]

s_endpgm 0
// GFX13: s_endpgm                                ; encoding: [0x00,0x00,0x81,0xbf]

s_endpgm 0x1234
// GFX13: s_endpgm 4660                           ; encoding: [0x34,0x12,0x81,0xbf]

s_branch 0
// GFX13: s_branch 0                              ; encoding: [0x00,0x00,0x82,0xbf]

s_branch 0x1234
// GFX13: s_branch 4660                           ; encoding: [0x34,0x12,0x82,0xbf]

s_wakeup 0
// GFX13: s_wakeup 0                              ; encoding: [0x00,0x00,0x83,0xbf]

s_wakeup 32
// GFX13: s_wakeup 32                             ; encoding: [0x20,0x00,0x83,0xbf]

s_cbranch_scc0 0
// GFX13: s_cbranch_scc0 0                        ; encoding: [0x00,0x00,0x84,0xbf]

s_cbranch_scc0 0x1234
// GFX13: s_cbranch_scc0 4660                     ; encoding: [0x34,0x12,0x84,0xbf]

s_cbranch_scc1 0
// GFX13: s_cbranch_scc1 0                        ; encoding: [0x00,0x00,0x85,0xbf]

s_cbranch_scc1 0x1234
// GFX13: s_cbranch_scc1 4660                     ; encoding: [0x34,0x12,0x85,0xbf]

s_cbranch_vccz 0
// GFX13: s_cbranch_vccz 0                        ; encoding: [0x00,0x00,0x86,0xbf]

s_cbranch_vccz 0x1234
// GFX13: s_cbranch_vccz 4660                     ; encoding: [0x34,0x12,0x86,0xbf]

s_cbranch_vccnz 0
// GFX13: s_cbranch_vccnz 0                       ; encoding: [0x00,0x00,0x87,0xbf]

s_cbranch_vccnz 0x1234
// GFX13: s_cbranch_vccnz 4660                    ; encoding: [0x34,0x12,0x87,0xbf]

s_cbranch_execz 0
// GFX13: s_cbranch_execz 0                       ; encoding: [0x00,0x00,0x88,0xbf]

s_cbranch_execz 0x1234
// GFX13: s_cbranch_execz 4660                    ; encoding: [0x34,0x12,0x88,0xbf]

s_cbranch_execnz 0
// GFX13: s_cbranch_execnz 0                      ; encoding: [0x00,0x00,0x89,0xbf]

s_cbranch_execnz 0x1234
// GFX13: s_cbranch_execnz 4660                   ; encoding: [0x34,0x12,0x89,0xbf]

s_sethalt 0
// GFX13: s_sethalt 0                             ; encoding: [0x00,0x00,0x8d,0xbf]

s_sethalt 0x1234
// GFX13: s_sethalt 0x1234                        ; encoding: [0x34,0x12,0x8d,0xbf]

s_sleep 0
// GFX13: s_sleep 0                               ; encoding: [0x00,0x00,0x8e,0xbf]

s_sleep 0x1234
// GFX13: s_sleep 0x1234                          ; encoding: [0x34,0x12,0x8e,0xbf]

s_setprio 0
// GFX13: s_setprio 0                             ; encoding: [0x00,0x00,0x8f,0xbf]

s_setprio 0x1234
// GFX13: s_setprio 0x1234                        ; encoding: [0x34,0x12,0x8f,0xbf]

s_sendmsg 0
// GFX13: s_sendmsg sendmsg(0, 0, 0)              ; encoding: [0x00,0x00,0x90,0xbf]

s_sendmsg 0x1234
// GFX13: s_sendmsg 4660                          ; encoding: [0x34,0x12,0x90,0xbf]

s_sendmsg sendmsg(MSG_HS_TESSFACTOR)
// GFX13: s_sendmsg sendmsg(MSG_HS_TESSFACTOR)    ; encoding: [0x02,0x00,0x90,0xbf]

s_sendmsg sendmsg(MSG_DEALLOC_VGPRS)
// GFX13: s_sendmsg sendmsg(MSG_DEALLOC_VGPRS)    ; encoding: [0x03,0x00,0x90,0xbf]

s_sendmsghalt 0
// GFX13: s_sendmsghalt sendmsg(0, 0, 0)          ; encoding: [0x00,0x00,0x91,0xbf]

s_sendmsghalt 0x1234
// GFX13: s_sendmsghalt 4660                      ; encoding: [0x34,0x12,0x91,0xbf]

s_sendmsghalt sendmsg(MSG_HS_TESSFACTOR)
// GFX13: s_sendmsghalt sendmsg(MSG_HS_TESSFACTOR) ; encoding: [0x02,0x00,0x91,0xbf]

s_sendmsghalt sendmsg(MSG_DEALLOC_VGPRS)
// GFX13: s_sendmsghalt sendmsg(MSG_DEALLOC_VGPRS) ; encoding: [0x03,0x00,0x91,0xbf]

s_trap 0
// GFX13: s_trap 0                                ; encoding: [0x00,0x00,0x92,0xbf]

s_trap 0x1234
// GFX13: s_trap 0x1234                           ; encoding: [0x34,0x12,0x92,0xbf]

s_icache_inv
// GFX13: s_icache_inv                            ; encoding: [0x00,0x00,0x93,0xbf]

s_incperflevel 0
// GFX13: s_incperflevel 0                        ; encoding: [0x00,0x00,0x94,0xbf]

s_incperflevel 0x1234
// GFX13: s_incperflevel 0x1234                   ; encoding: [0x34,0x12,0x94,0xbf]

s_decperflevel 0
// GFX13: s_decperflevel 0                        ; encoding: [0x00,0x00,0x95,0xbf]

s_decperflevel 0x1234
// GFX13: s_decperflevel 0x1234                   ; encoding: [0x34,0x12,0x95,0xbf]

s_ttracedata
// GFX13: s_ttracedata                            ; encoding: [0x00,0x00,0x96,0xbf]

s_endpgm_saved
// GFX13: s_endpgm_saved                          ; encoding: [0x00,0x00,0x9b,0xbf]

s_code_end
// GFX13: s_code_end                              ; encoding: [0x00,0x00,0x9f,0xbf]

s_clause 0
// GFX13: s_clause 0x0                            ; encoding: [0x00,0x00,0xa1,0xbf]

s_clause 0x1234
// GFX13: s_clause 0x1234                         ; encoding: [0x34,0x12,0xa1,0xbf]

s_wait_idle
// GFX13: s_wait_idle                             ; encoding: [0x00,0x00,0xa2,0xbf]

s_wait_alu 0
// GFX13: s_wait_alu depctr_hold_cnt(0) depctr_sa_sdst(0) depctr_va_vdst(0) depctr_va_sdst(0) depctr_va_ssrc(0) depctr_va_vcc(0) depctr_vm_vsrc(0) ; encoding: [0x00,0x00,0xa3,0xbf]

s_wait_alu 0x1234
// GFX13: s_wait_alu 0x1234                       ; encoding: [0x34,0x12,0xa3,0xbf]

s_wait_alu depctr_va_vdst(14)
// GFX13: s_wait_alu depctr_va_vdst(14)           ; encoding: [0x9f,0xef,0xa3,0xbf]

s_wait_alu depctr_va_sdst(6)
// GFX13: s_wait_alu depctr_va_sdst(6)            ; encoding: [0x9f,0xfd,0xa3,0xbf]

s_wait_alu depctr_vm_vsrc(6)
// GFX13: s_wait_alu depctr_vm_vsrc(6)            ; encoding: [0x9b,0xff,0xa3,0xbf]

s_round_mode 0
// GFX13: s_round_mode 0x0                        ; encoding: [0x00,0x00,0xa4,0xbf]

s_round_mode 0x1234
// GFX13: s_round_mode 0x1234                     ; encoding: [0x34,0x12,0xa4,0xbf]

s_denorm_mode 0
// GFX13: s_denorm_mode 0                         ; encoding: [0x00,0x00,0xa5,0xbf]

s_denorm_mode 0x1234
// GFX13: s_denorm_mode 0x1234                    ; encoding: [0x34,0x12,0xa5,0xbf]

s_ttracedata_imm 0
// GFX13: s_ttracedata_imm 0x0                    ; encoding: [0x00,0x00,0xa8,0xbf]

s_ttracedata_imm 0x1234
// GFX13: s_ttracedata_imm 0x1234                 ; encoding: [0x34,0x12,0xa8,0xbf]

s_barrier_wait 0
// GFX13: s_barrier_wait 0                        ; encoding: [0x00,0x00,0xab,0xbf]

s_barrier_wait 0x1234
// GFX13: s_barrier_wait 0x1234                   ; encoding: [0x34,0x12,0xab,0xbf]

s_monitor_sleep 0
// GFX13: s_monitor_sleep 0                       ; encoding: [0x00,0x00,0xac,0xbf]

s_monitor_sleep 0x1234
// GFX13: s_monitor_sleep 0x1234                  ; encoding: [0x34,0x12,0xac,0xbf]

s_delay_alu 0
// GFX13: s_delay_alu 0                           ; encoding: [0x00,0x00,0xae,0xbf]

s_delay_alu 0x1234
// GFX13: s_delay_alu instid0(VALU_DEP_4) | instskip(SKIP_2) | instid1(VALU_DEP_4) ; encoding: [0x34,0x12,0xae,0xbf]

s_delay_alu instid0(VALU_DEP_4)
// GFX13: s_delay_alu instid0(VALU_DEP_4)         ; encoding: [0x04,0x00,0xae,0xbf]

s_delay_alu instid1(SALU_CYCLE_3)
// GFX13: s_delay_alu instid1(SALU_CYCLE_3)       ; encoding: [0x80,0x05,0xae,0xbf]

s_wait_event 0
// GFX13: s_wait_event { export_ready: 0 }        ; encoding: [0x00,0x00,0xaf,0xbf]

s_wait_event 1
// GFX13: s_wait_event 0x1                        ; encoding: [0x01,0x00,0xaf,0xbf]

s_wait_event 2
// GFX13: s_wait_event { export_ready: 1 }        ; encoding: [0x02,0x00,0xaf,0xbf]

s_wait_event 0x1234
// GFX13: s_wait_event 0x1234                     ; encoding: [0x34,0x12,0xaf,0xbf]

s_barrier_leave 0
// GFX13: s_barrier_leave 0                       ; encoding: [0x00,0x00,0xb1,0xbf]

s_barrier_leave 32
// GFX13: s_barrier_leave 32                      ; encoding: [0x20,0x00,0xb1,0xbf]

s_wait_loadcnt 0
// GFX13: s_wait_loadcnt 0x0                      ; encoding: [0x00,0x00,0xc0,0xbf]

s_wait_loadcnt 0x1234
// GFX13: s_wait_loadcnt 0x1234                   ; encoding: [0x34,0x12,0xc0,0xbf]

s_wait_storecnt 0
// GFX13: s_wait_storecnt 0x0                     ; encoding: [0x00,0x00,0xc1,0xbf]

s_wait_storecnt 0x1234
// GFX13: s_wait_storecnt 0x1234                  ; encoding: [0x34,0x12,0xc1,0xbf]

s_wait_samplecnt 0
// GFX13: s_wait_samplecnt 0x0                    ; encoding: [0x00,0x00,0xc2,0xbf]

s_wait_samplecnt 0x1234
// GFX13: s_wait_samplecnt 0x1234                 ; encoding: [0x34,0x12,0xc2,0xbf]

s_wait_expcnt 0
// GFX13: s_wait_expcnt 0x0                       ; encoding: [0x00,0x00,0xc4,0xbf]

s_wait_expcnt 0x1234
// GFX13: s_wait_expcnt 0x1234                    ; encoding: [0x34,0x12,0xc4,0xbf]

s_wait_dscnt 0
// GFX13: s_wait_dscnt 0x0                        ; encoding: [0x00,0x00,0xc6,0xbf]

s_wait_dscnt 0x1234
// GFX13: s_wait_dscnt 0x1234                     ; encoding: [0x34,0x12,0xc6,0xbf]

s_wait_kmcnt 0
// GFX13: s_wait_kmcnt 0x0                        ; encoding: [0x00,0x00,0xc7,0xbf]

s_wait_kmcnt 0x1234
// GFX13: s_wait_kmcnt 0x1234                     ; encoding: [0x34,0x12,0xc7,0xbf]

s_wait_loadcnt_dscnt 0
// GFX13: s_wait_loadcnt_dscnt 0x0                ; encoding: [0x00,0x00,0xc8,0xbf]

s_wait_loadcnt_dscnt 0x1234
// GFX13: s_wait_loadcnt_dscnt 0x1234             ; encoding: [0x34,0x12,0xc8,0xbf]

s_wait_storecnt_dscnt 0
// GFX13: s_wait_storecnt_dscnt 0x0               ; encoding: [0x00,0x00,0xc9,0xbf]

s_wait_storecnt_dscnt 0x1234
// GFX13: s_wait_storecnt_dscnt 0x1234            ; encoding: [0x34,0x12,0xc9,0xbf]

s_wait_asynccnt 0
// GFX13: s_wait_asynccnt 0x0                     ; encoding: [0x00,0x00,0xca,0xbf]

s_wait_asynccnt 0x1234
// GFX13: s_wait_asynccnt 0x1234                  ; encoding: [0x34,0x12,0xca,0xbf]

s_wait_tensorcnt 0x0
// GFX13: s_wait_tensorcnt 0x0                    ; encoding: [0x00,0x00,0xcb,0xbf]

s_wait_tensorcnt 0x1
// GFX13: s_wait_tensorcnt 0x1                    ; encoding: [0x01,0x00,0xcb,0xbf]
	;; [unrolled: 3-line block ×3, first 2 shown]
